;; amdgpu-corpus repo=ROCm/rocFFT kind=compiled arch=gfx950 opt=O3
	.text
	.amdgcn_target "amdgcn-amd-amdhsa--gfx950"
	.amdhsa_code_object_version 6
	.protected	fft_rtc_back_len121_factors_11_11_wgs_121_tpt_11_halfLds_half_ip_CI_sbrr_dirReg ; -- Begin function fft_rtc_back_len121_factors_11_11_wgs_121_tpt_11_halfLds_half_ip_CI_sbrr_dirReg
	.globl	fft_rtc_back_len121_factors_11_11_wgs_121_tpt_11_halfLds_half_ip_CI_sbrr_dirReg
	.p2align	8
	.type	fft_rtc_back_len121_factors_11_11_wgs_121_tpt_11_halfLds_half_ip_CI_sbrr_dirReg,@function
fft_rtc_back_len121_factors_11_11_wgs_121_tpt_11_halfLds_half_ip_CI_sbrr_dirReg: ; @fft_rtc_back_len121_factors_11_11_wgs_121_tpt_11_halfLds_half_ip_CI_sbrr_dirReg
; %bb.0:
	s_load_dwordx2 s[12:13], s[0:1], 0x18
	s_load_dwordx4 s[4:7], s[0:1], 0x0
	s_load_dwordx2 s[10:11], s[0:1], 0x50
	v_mul_u32_u24_e32 v1, 0x1746, v0
	v_lshrrev_b32_e32 v2, 16, v1
	s_waitcnt lgkmcnt(0)
	s_load_dwordx2 s[8:9], s[12:13], 0x0
	v_mad_u64_u32 v[2:3], s[2:3], s2, 11, v[2:3]
	v_mov_b32_e32 v6, 0
	v_mov_b32_e32 v3, v6
	v_cmp_lt_u64_e64 s[2:3], s[6:7], 2
	s_and_b64 vcc, exec, s[2:3]
	v_mov_b64_e32 v[4:5], 0
	v_mov_b64_e32 v[10:11], v[2:3]
	s_cbranch_vccnz .LBB0_8
; %bb.1:
	s_load_dwordx2 s[2:3], s[0:1], 0x10
	s_add_u32 s14, s12, 8
	s_addc_u32 s15, s13, 0
	s_mov_b64 s[16:17], 1
	v_mov_b64_e32 v[4:5], 0
	s_waitcnt lgkmcnt(0)
	s_add_u32 s18, s2, 8
	s_addc_u32 s19, s3, 0
	v_mov_b64_e32 v[8:9], v[2:3]
.LBB0_2:                                ; =>This Inner Loop Header: Depth=1
	s_load_dwordx2 s[20:21], s[18:19], 0x0
                                        ; implicit-def: $vgpr10_vgpr11
	s_waitcnt lgkmcnt(0)
	v_or_b32_e32 v7, s21, v9
	v_cmp_ne_u64_e32 vcc, 0, v[6:7]
	s_and_saveexec_b64 s[2:3], vcc
	s_xor_b64 s[22:23], exec, s[2:3]
	s_cbranch_execz .LBB0_4
; %bb.3:                                ;   in Loop: Header=BB0_2 Depth=1
	v_cvt_f32_u32_e32 v1, s20
	v_cvt_f32_u32_e32 v3, s21
	s_sub_u32 s2, 0, s20
	s_subb_u32 s3, 0, s21
	v_fmac_f32_e32 v1, 0x4f800000, v3
	v_rcp_f32_e32 v1, v1
	s_nop 0
	v_mul_f32_e32 v1, 0x5f7ffffc, v1
	v_mul_f32_e32 v3, 0x2f800000, v1
	v_trunc_f32_e32 v3, v3
	v_fmac_f32_e32 v1, 0xcf800000, v3
	v_cvt_u32_f32_e32 v3, v3
	v_cvt_u32_f32_e32 v1, v1
	v_mul_lo_u32 v7, s2, v3
	v_mul_hi_u32 v10, s2, v1
	v_mul_lo_u32 v11, s3, v1
	v_add_u32_e32 v7, v10, v7
	v_mul_lo_u32 v14, s2, v1
	v_add_u32_e32 v7, v7, v11
	v_mul_hi_u32 v10, v1, v14
	v_mul_hi_u32 v13, v1, v7
	v_mul_lo_u32 v12, v1, v7
	v_mov_b32_e32 v11, v6
	v_lshl_add_u64 v[10:11], v[10:11], 0, v[12:13]
	v_mul_hi_u32 v13, v3, v14
	v_mul_lo_u32 v14, v3, v14
	v_add_co_u32_e32 v10, vcc, v10, v14
	v_mul_hi_u32 v12, v3, v7
	s_nop 0
	v_addc_co_u32_e32 v10, vcc, v11, v13, vcc
	v_mov_b32_e32 v11, v6
	s_nop 0
	v_addc_co_u32_e32 v13, vcc, 0, v12, vcc
	v_mul_lo_u32 v12, v3, v7
	v_lshl_add_u64 v[10:11], v[10:11], 0, v[12:13]
	v_add_co_u32_e32 v1, vcc, v1, v10
	v_mul_hi_u32 v10, s2, v1
	s_nop 0
	v_addc_co_u32_e32 v3, vcc, v3, v11, vcc
	v_mul_lo_u32 v7, s2, v3
	v_add_u32_e32 v7, v10, v7
	v_mul_lo_u32 v10, s3, v1
	v_add_u32_e32 v7, v7, v10
	v_mul_lo_u32 v12, s2, v1
	v_mul_hi_u32 v15, v3, v12
	v_mul_lo_u32 v16, v3, v12
	v_mul_hi_u32 v11, v1, v7
	;; [unrolled: 2-line block ×3, first 2 shown]
	v_mov_b32_e32 v13, v6
	v_lshl_add_u64 v[10:11], v[12:13], 0, v[10:11]
	v_add_co_u32_e32 v10, vcc, v10, v16
	v_mul_hi_u32 v14, v3, v7
	s_nop 0
	v_addc_co_u32_e32 v10, vcc, v11, v15, vcc
	v_mul_lo_u32 v12, v3, v7
	s_nop 0
	v_addc_co_u32_e32 v13, vcc, 0, v14, vcc
	v_mov_b32_e32 v11, v6
	v_lshl_add_u64 v[10:11], v[10:11], 0, v[12:13]
	v_add_co_u32_e32 v1, vcc, v1, v10
	v_mul_hi_u32 v12, v8, v1
	s_nop 0
	v_addc_co_u32_e32 v3, vcc, v3, v11, vcc
	v_mad_u64_u32 v[10:11], s[2:3], v8, v3, 0
	v_mov_b32_e32 v13, v6
	v_lshl_add_u64 v[10:11], v[12:13], 0, v[10:11]
	v_mad_u64_u32 v[14:15], s[2:3], v9, v1, 0
	v_add_co_u32_e32 v1, vcc, v10, v14
	v_mad_u64_u32 v[12:13], s[2:3], v9, v3, 0
	s_nop 0
	v_addc_co_u32_e32 v10, vcc, v11, v15, vcc
	v_mov_b32_e32 v11, v6
	s_nop 0
	v_addc_co_u32_e32 v13, vcc, 0, v13, vcc
	v_lshl_add_u64 v[10:11], v[10:11], 0, v[12:13]
	v_mul_lo_u32 v1, s21, v10
	v_mul_lo_u32 v3, s20, v11
	v_mad_u64_u32 v[12:13], s[2:3], s20, v10, 0
	v_add3_u32 v1, v13, v3, v1
	v_sub_u32_e32 v3, v9, v1
	v_mov_b32_e32 v7, s21
	v_sub_co_u32_e32 v16, vcc, v8, v12
	v_lshl_add_u64 v[14:15], v[10:11], 0, 1
	s_nop 0
	v_subb_co_u32_e64 v3, s[2:3], v3, v7, vcc
	v_subrev_co_u32_e64 v7, s[2:3], s20, v16
	v_subb_co_u32_e32 v1, vcc, v9, v1, vcc
	s_nop 0
	v_subbrev_co_u32_e64 v3, s[2:3], 0, v3, s[2:3]
	v_cmp_le_u32_e64 s[2:3], s21, v3
	v_cmp_le_u32_e32 vcc, s21, v1
	s_nop 0
	v_cndmask_b32_e64 v12, 0, -1, s[2:3]
	v_cmp_le_u32_e64 s[2:3], s20, v7
	s_nop 1
	v_cndmask_b32_e64 v7, 0, -1, s[2:3]
	v_cmp_eq_u32_e64 s[2:3], s21, v3
	s_nop 1
	v_cndmask_b32_e64 v3, v12, v7, s[2:3]
	v_lshl_add_u64 v[12:13], v[10:11], 0, 2
	v_cmp_ne_u32_e64 s[2:3], 0, v3
	v_cndmask_b32_e64 v7, 0, -1, vcc
	v_cmp_le_u32_e32 vcc, s20, v16
	v_cndmask_b32_e64 v3, v15, v13, s[2:3]
	s_nop 0
	v_cndmask_b32_e64 v13, 0, -1, vcc
	v_cmp_eq_u32_e32 vcc, s21, v1
	s_nop 1
	v_cndmask_b32_e32 v1, v7, v13, vcc
	v_cmp_ne_u32_e32 vcc, 0, v1
	v_cndmask_b32_e64 v1, v14, v12, s[2:3]
	s_nop 0
	v_cndmask_b32_e32 v11, v11, v3, vcc
	v_cndmask_b32_e32 v10, v10, v1, vcc
.LBB0_4:                                ;   in Loop: Header=BB0_2 Depth=1
	s_andn2_saveexec_b64 s[2:3], s[22:23]
	s_cbranch_execz .LBB0_6
; %bb.5:                                ;   in Loop: Header=BB0_2 Depth=1
	v_cvt_f32_u32_e32 v1, s20
	s_sub_i32 s22, 0, s20
	v_mov_b32_e32 v11, v6
	v_rcp_iflag_f32_e32 v1, v1
	s_nop 0
	v_mul_f32_e32 v1, 0x4f7ffffe, v1
	v_cvt_u32_f32_e32 v1, v1
	v_mul_lo_u32 v3, s22, v1
	v_mul_hi_u32 v3, v1, v3
	v_add_u32_e32 v1, v1, v3
	v_mul_hi_u32 v1, v8, v1
	v_mul_lo_u32 v3, v1, s20
	v_sub_u32_e32 v3, v8, v3
	v_add_u32_e32 v7, 1, v1
	v_subrev_u32_e32 v10, s20, v3
	v_cmp_le_u32_e32 vcc, s20, v3
	s_nop 1
	v_cndmask_b32_e32 v3, v3, v10, vcc
	v_cndmask_b32_e32 v1, v1, v7, vcc
	v_add_u32_e32 v7, 1, v1
	v_cmp_le_u32_e32 vcc, s20, v3
	s_nop 1
	v_cndmask_b32_e32 v10, v1, v7, vcc
.LBB0_6:                                ;   in Loop: Header=BB0_2 Depth=1
	s_or_b64 exec, exec, s[2:3]
	v_mad_u64_u32 v[12:13], s[2:3], v10, s20, 0
	s_load_dwordx2 s[2:3], s[14:15], 0x0
	s_add_u32 s16, s16, 1
	v_mul_lo_u32 v1, v11, s20
	v_mul_lo_u32 v3, v10, s21
	s_addc_u32 s17, s17, 0
	v_add3_u32 v1, v13, v3, v1
	v_sub_co_u32_e32 v3, vcc, v8, v12
	s_add_u32 s14, s14, 8
	s_nop 0
	v_subb_co_u32_e32 v1, vcc, v9, v1, vcc
	s_addc_u32 s15, s15, 0
	v_mov_b64_e32 v[8:9], s[6:7]
	s_waitcnt lgkmcnt(0)
	v_mul_lo_u32 v1, s2, v1
	v_mul_lo_u32 v7, s3, v3
	v_mad_u64_u32 v[4:5], s[2:3], s2, v3, v[4:5]
	s_add_u32 s18, s18, 8
	v_cmp_ge_u64_e32 vcc, s[16:17], v[8:9]
	v_add3_u32 v5, v7, v5, v1
	s_addc_u32 s19, s19, 0
	s_cbranch_vccnz .LBB0_8
; %bb.7:                                ;   in Loop: Header=BB0_2 Depth=1
	v_mov_b64_e32 v[8:9], v[10:11]
	s_branch .LBB0_2
.LBB0_8:
	s_lshl_b64 s[2:3], s[6:7], 3
	s_add_u32 s2, s12, s2
	s_addc_u32 s3, s13, s3
	s_load_dwordx2 s[6:7], s[2:3], 0x0
	s_load_dwordx2 s[12:13], s[0:1], 0x20
                                        ; implicit-def: $vgpr22
                                        ; implicit-def: $vgpr12
                                        ; implicit-def: $vgpr19
                                        ; implicit-def: $vgpr16
                                        ; implicit-def: $vgpr9
                                        ; implicit-def: $vgpr14
                                        ; implicit-def: $vgpr13
                                        ; implicit-def: $vgpr25
                                        ; implicit-def: $vgpr23
                                        ; implicit-def: $vgpr24
                                        ; implicit-def: $vgpr20
                                        ; implicit-def: $vgpr21
                                        ; implicit-def: $vgpr17
                                        ; implicit-def: $vgpr18
                                        ; implicit-def: $vgpr15
                                        ; implicit-def: $vgpr8
	s_waitcnt lgkmcnt(0)
	v_mad_u64_u32 v[6:7], s[0:1], s6, v10, v[4:5]
	v_mul_lo_u32 v1, s6, v11
	v_mul_lo_u32 v3, s7, v10
	s_mov_b32 s0, 0x1745d175
	v_add3_u32 v7, v3, v7, v1
	v_mul_hi_u32 v1, v0, s0
	v_mul_u32_u24_e32 v1, 11, v1
	v_cmp_gt_u64_e32 vcc, s[12:13], v[10:11]
	v_sub_u32_e32 v4, v0, v1
	v_mov_b32_e32 v3, 0
	v_lshl_add_u64 v[0:1], v[6:7], 2, s[10:11]
	v_mov_b32_e32 v5, 0
                                        ; implicit-def: $vgpr11
                                        ; implicit-def: $vgpr7
                                        ; implicit-def: $vgpr6
                                        ; implicit-def: $vgpr10
	s_and_saveexec_b64 s[0:1], vcc
	s_cbranch_execz .LBB0_10
; %bb.9:
	v_mad_u64_u32 v[14:15], s[2:3], s8, v4, 0
	v_mov_b32_e32 v6, v15
	v_mad_u64_u32 v[6:7], s[2:3], s9, v4, v[6:7]
	v_add_u32_e32 v3, 11, v4
	v_mov_b32_e32 v15, v6
	v_mad_u64_u32 v[6:7], s[2:3], s8, v3, 0
	v_mov_b32_e32 v8, v7
	v_mad_u64_u32 v[8:9], s[2:3], s9, v3, v[8:9]
	v_mov_b32_e32 v7, v8
	v_add_u32_e32 v3, 22, v4
	v_lshl_add_u64 v[16:17], v[6:7], 2, v[0:1]
	v_mad_u64_u32 v[6:7], s[2:3], s8, v3, 0
	v_mov_b32_e32 v8, v7
	v_mad_u64_u32 v[8:9], s[2:3], s9, v3, v[8:9]
	v_mov_b32_e32 v7, v8
	v_add_u32_e32 v3, 33, v4
	v_lshl_add_u64 v[18:19], v[6:7], 2, v[0:1]
	;; [unrolled: 6-line block ×7, first 2 shown]
	global_load_dword v12, v[16:17], off
	global_load_dword v11, v[18:19], off
	;; [unrolled: 1-line block ×7, first 2 shown]
	v_mad_u64_u32 v[16:17], s[2:3], s8, v3, 0
	v_mov_b32_e32 v18, v17
	v_mad_u64_u32 v[18:19], s[2:3], s9, v3, v[18:19]
	v_mov_b32_e32 v17, v18
	v_add_u32_e32 v3, 0x63, v4
	v_lshl_add_u64 v[18:19], v[16:17], 2, v[0:1]
	v_mad_u64_u32 v[16:17], s[2:3], s8, v3, 0
	v_mov_b32_e32 v20, v17
	v_mad_u64_u32 v[20:21], s[2:3], s9, v3, v[20:21]
	v_mov_b32_e32 v17, v20
	v_add_u32_e32 v3, 0x6e, v4
	v_lshl_add_u64 v[24:25], v[16:17], 2, v[0:1]
	v_mad_u64_u32 v[16:17], s[2:3], s8, v3, 0
	v_mov_b32_e32 v20, v17
	v_mad_u64_u32 v[20:21], s[2:3], s9, v3, v[20:21]
	v_mov_b32_e32 v17, v20
	v_lshl_add_u64 v[26:27], v[16:17], 2, v[0:1]
	global_load_dword v17, v[18:19], off
	global_load_dword v20, v[24:25], off
	;; [unrolled: 1-line block ×3, first 2 shown]
	v_lshl_add_u64 v[14:15], v[14:15], 2, v[0:1]
	global_load_dword v5, v[14:15], off
	v_mov_b32_e32 v3, v4
	s_waitcnt vmcnt(10)
	v_lshrrev_b32_e32 v22, 16, v12
	s_waitcnt vmcnt(9)
	v_lshrrev_b32_e32 v19, 16, v11
	s_waitcnt vmcnt(8)
	v_lshrrev_b32_e32 v16, 16, v9
	s_waitcnt vmcnt(7)
	v_lshrrev_b32_e32 v14, 16, v7
	s_waitcnt vmcnt(6)
	v_lshrrev_b32_e32 v13, 16, v6
	s_waitcnt vmcnt(5)
	v_lshrrev_b32_e32 v15, 16, v8
	s_waitcnt vmcnt(4)
	v_lshrrev_b32_e32 v18, 16, v10
	s_waitcnt vmcnt(3)
	v_lshrrev_b32_e32 v21, 16, v17
	s_waitcnt vmcnt(2)
	v_lshrrev_b32_e32 v24, 16, v20
	s_waitcnt vmcnt(1)
	v_lshrrev_b32_e32 v25, 16, v23
.LBB0_10:
	s_or_b64 exec, exec, s[0:1]
	s_mov_b32 s0, 0xba2e8ba3
	v_mul_hi_u32 v26, v2, s0
	v_lshrrev_b32_e32 v26, 3, v26
	v_mul_lo_u32 v26, v26, 11
	v_sub_u32_e32 v2, v2, v26
	s_waitcnt vmcnt(0)
	v_add_f16_e32 v26, v12, v5
	v_add_f16_e32 v26, v11, v26
	;; [unrolled: 1-line block ×8, first 2 shown]
	v_add_f16_sdwa v27, v22, v5 dst_sel:DWORD dst_unused:UNUSED_PAD src0_sel:DWORD src1_sel:WORD_1
	v_add_f16_e32 v26, v20, v26
	v_add_f16_e32 v27, v19, v27
	;; [unrolled: 1-line block ×4, first 2 shown]
	v_sub_f16_e32 v23, v12, v23
	v_add_f16_e32 v27, v16, v27
	v_add_f16_e32 v29, v22, v25
	s_mov_b32 s0, 0xbbad
	v_mul_f16_e32 v32, 0xb482, v23
	v_add_f16_e32 v34, v11, v20
	v_sub_f16_e32 v20, v11, v20
	v_add_f16_e32 v27, v14, v27
	v_fma_f16 v33, v29, s0, -v32
	v_add_f16_e32 v35, v19, v24
	s_movk_i32 s2, 0x3abb
	v_mul_f16_e32 v37, 0x3853, v20
	v_sub_f16_e32 v40, v9, v17
	v_add_f16_e32 v27, v13, v27
	v_sub_f16_e32 v12, v22, v25
	v_mul_f16_e32 v22, 0xbbad, v28
	s_mov_b32 s1, 0xb482
	v_add_f16_sdwa v33, v33, v5 dst_sel:DWORD dst_unused:UNUSED_PAD src0_sel:DWORD src1_sel:WORD_1
	v_fma_f16 v38, v35, s2, -v37
	v_add_f16_e32 v39, v16, v21
	s_mov_b32 s3, 0xb93d
	v_mul_f16_e32 v41, 0xba0c, v40
	v_sub_f16_e32 v44, v7, v10
	v_add_f16_e32 v27, v15, v27
	v_fma_f16 v30, v12, s1, v22
	v_sub_f16_e32 v11, v19, v24
	v_mul_f16_e32 v19, 0x3abb, v34
	s_movk_i32 s7, 0x3853
	v_add_f16_e32 v33, v38, v33
	v_add_f16_e32 v38, v9, v17
	v_fma_f16 v42, v39, s3, -v41
	v_add_f16_e32 v43, v14, v18
	s_movk_i32 s10, 0x36a6
	v_mul_f16_e32 v45, 0x3b47, v44
	v_add_f16_e32 v27, v18, v27
	v_add_f16_e32 v30, v30, v5
	v_fma_f16 v36, v11, s7, v19
	v_sub_f16_e32 v9, v16, v21
	v_mul_f16_e32 v16, 0xb93d, v38
	s_mov_b32 s6, 0xba0c
	v_add_f16_e32 v33, v42, v33
	v_add_f16_e32 v42, v7, v10
	v_fma_f16 v46, v43, s10, -v45
	v_add_f16_e32 v27, v21, v27
	v_add_f16_e32 v30, v36, v30
	v_fma_f16 v21, v9, s6, v16
	v_sub_f16_e32 v7, v14, v18
	v_mul_f16_e32 v10, 0x36a6, v42
	s_movk_i32 s13, 0x3b47
	v_add_f16_e32 v33, v46, v33
	v_add_f16_e32 v46, v6, v8
	;; [unrolled: 1-line block ×3, first 2 shown]
	v_fma_f16 v18, v7, s13, v10
	v_sub_f16_e32 v48, v6, v8
	v_sub_f16_e32 v6, v13, v15
	v_mul_f16_e32 v8, 0xb08e, v46
	s_mov_b32 s12, 0xbbeb
	v_add_f16_e32 v18, v18, v21
	v_add_f16_e32 v47, v13, v15
	v_fma_f16 v13, v6, s12, v8
	s_mov_b32 s11, 0xb08e
	v_add_f16_e32 v13, v13, v18
	v_mul_f16_e32 v18, 0xbbeb, v48
	v_fma_f16 v15, v47, s11, -v18
	s_mov_b32 s16, 0xbb47b853
	v_add_f16_e32 v33, v15, v33
	s_mov_b32 s14, 0x36a63abb
	v_pk_mul_f16 v15, v12, s16 op_sel_hi:[0,1]
	s_mov_b32 s17, 0xba0cbb47
	v_pk_fma_f16 v49, v28, s14, v15 op_sel_hi:[0,1,1]
	s_mov_b32 s15, 0xb93d36a6
	v_pk_mul_f16 v50, v11, s17 op_sel_hi:[0,1]
	v_pk_add_f16 v49, v49, v5 op_sel_hi:[1,0]
	v_pk_fma_f16 v51, v34, s15, v50 op_sel_hi:[0,1,1]
	s_mov_b32 s19, 0x3482bbeb
	v_pk_add_f16 v49, v51, v49
	s_mov_b32 s18, 0xbbadb08e
	v_pk_mul_f16 v51, v9, s19 op_sel_hi:[0,1]
	v_pk_fma_f16 v52, v38, s18, v51 op_sel_hi:[0,1,1]
	s_mov_b32 s21, 0x3bebba0c
	v_pk_add_f16 v49, v52, v49
	s_mov_b32 s20, 0xb08eb93d
	v_pk_mul_f16 v52, v7, s21 op_sel_hi:[0,1]
	;; [unrolled: 5-line block ×3, first 2 shown]
	v_pk_fma_f16 v54, v46, s22, v53 op_sel_hi:[0,1,1]
	s_mov_b32 s24, 0xb93db08e
	s_mov_b32 s25, 0xba0cbbeb
	v_add_f16_e32 v27, v24, v27
	v_pk_add_f16 v49, v54, v49
	v_pk_mul_f16 v54, v28, s24 op_sel_hi:[0,1]
	v_pk_mul_f16 v55, v12, s25 op_sel_hi:[0,1]
	s_mov_b32 s26, 0xb08ebbad
	s_mov_b32 s27, 0x3beb3482
	v_add_f16_e32 v27, v25, v27
	v_mul_f16_e32 v25, 0xb482, v12
	v_sub_f16_e32 v56, v54, v55
	v_pk_fma_f16 v12, v12, s25, v54 op_sel_hi:[0,1,1]
	v_pk_mul_f16 v57, v34, s26 op_sel_hi:[0,1]
	v_pk_mul_f16 v58, v11, s27 op_sel_hi:[0,1]
	v_mul_f16_e32 v24, 0x3853, v11
	v_add_f16_e32 v56, v56, v5
	v_pk_add_f16 v12, v12, v5 op_sel_hi:[1,0]
	v_sub_f16_e32 v59, v57, v58
	v_pk_fma_f16 v11, v11, s27, v57 op_sel_hi:[0,1,1]
	s_mov_b32 s28, 0x3abb36a6
	s_mov_b32 s29, 0xb8533b47
	v_add_f16_e32 v56, v59, v56
	v_pk_add_f16 v11, v11, v12
	v_pk_mul_f16 v12, v38, s28 op_sel_hi:[0,1]
	v_pk_mul_f16 v59, v9, s29 op_sel_hi:[0,1]
	v_mul_f16_e32 v17, 0xba0c, v9
	v_sub_f16_e32 v60, v12, v59
	v_pk_fma_f16 v9, v9, s29, v12 op_sel_hi:[0,1,1]
	s_mov_b32 s30, 0xbbad3abb
	s_mov_b32 s31, 0xb482b853
	v_add_f16_e32 v56, v60, v56
	v_pk_add_f16 v9, v9, v11
	v_pk_mul_f16 v11, v42, s30 op_sel_hi:[0,1]
	v_pk_mul_f16 v60, v7, s31 op_sel_hi:[0,1]
	v_mul_f16_e32 v14, 0x3b47, v7
	v_sub_f16_e32 v61, v11, v60
	v_pk_fma_f16 v7, v7, s31, v11 op_sel_hi:[0,1,1]
	s_mov_b32 s33, 0x36a6b93d
	s_mov_b32 s34, 0x3b47ba0c
	v_add_f16_e32 v56, v61, v56
	v_pk_add_f16 v7, v7, v9
	v_pk_mul_f16 v9, v46, s33 op_sel_hi:[0,1]
	v_pk_mul_f16 v61, v6, s34 op_sel_hi:[0,1]
	v_sub_f16_e32 v62, v9, v61
	v_add_f16_e32 v56, v62, v56
	v_mul_f16_e32 v62, 0xbbeb, v6
	v_pk_fma_f16 v6, v6, s34, v9 op_sel_hi:[0,1,1]
	s_mov_b32 s35, 0xffff
	v_pk_add_f16 v6, v6, v7
	v_bfi_b32 v7, s35, v22, v54
	v_bfi_b32 v25, s35, v25, v55
	v_pk_add_f16 v7, v7, v25 neg_lo:[0,1] neg_hi:[0,1]
	v_bfi_b32 v19, s35, v19, v57
	v_bfi_b32 v24, s35, v24, v58
	v_pk_add_f16 v7, v7, v5 op_sel_hi:[1,0]
	v_pk_add_f16 v19, v19, v24 neg_lo:[0,1] neg_hi:[0,1]
	v_bfi_b32 v12, s35, v16, v12
	v_bfi_b32 v16, s35, v17, v59
	v_pk_add_f16 v7, v19, v7
	v_pk_add_f16 v12, v12, v16 neg_lo:[0,1] neg_hi:[0,1]
	v_bfi_b32 v10, s35, v10, v11
	v_bfi_b32 v11, s35, v14, v60
	v_pk_add_f16 v7, v12, v7
	v_pk_add_f16 v10, v10, v11 neg_lo:[0,1] neg_hi:[0,1]
	v_bfi_b32 v8, s35, v8, v9
	v_bfi_b32 v9, s35, v62, v61
	v_pk_mul_f16 v24, v23, s16 op_sel_hi:[0,1]
	v_mul_u32_u24_e32 v2, 0x79, v2
	v_pk_add_f16 v7, v10, v7
	v_pk_add_f16 v8, v8, v9 neg_lo:[0,1] neg_hi:[0,1]
	v_pk_fma_f16 v19, v29, s14, v24 op_sel_hi:[0,1,1] neg_lo:[0,0,1] neg_hi:[0,0,1]
	v_pk_mul_f16 v25, v20, s17 op_sel_hi:[0,1]
	v_lshl_add_u32 v2, v2, 1, 0
	v_pk_add_f16 v9, v8, v7
	v_alignbit_b32 v8, v13, v6, 16
	v_alignbit_b32 v7, v6, v49, 16
	v_pack_b32_f16 v6, v26, v49
	v_pk_add_f16 v19, v19, v5 op_sel:[0,1]
	v_pk_fma_f16 v26, v35, s15, v25 op_sel_hi:[0,1,1] neg_lo:[0,0,1] neg_hi:[0,0,1]
	v_mad_u32_u24 v22, v4, 22, v2
	v_pk_add_f16 v19, v26, v19
	v_pk_mul_f16 v26, v40, s19 op_sel_hi:[0,1]
	ds_write_b128 v22, v[6:9]
	ds_write_b16 v22, v56 offset:16
	v_pk_fma_f16 v6, v28, s14, v15 op_sel_hi:[0,1,1] neg_lo:[0,0,1] neg_hi:[0,0,1]
	v_pk_fma_f16 v28, v39, s18, v26 op_sel_hi:[0,1,1] neg_lo:[0,0,1] neg_hi:[0,0,1]
	v_pk_add_f16 v19, v28, v19
	v_pk_mul_f16 v28, v44, s21 op_sel_hi:[0,1]
	v_pk_fma_f16 v7, v34, s15, v50 op_sel_hi:[0,1,1] neg_lo:[0,0,1] neg_hi:[0,0,1]
	v_pk_fma_f16 v34, v43, s20, v28 op_sel_hi:[0,1,1] neg_lo:[0,0,1] neg_hi:[0,0,1]
	v_pk_add_f16 v6, v6, v5 op_sel_hi:[1,0]
	v_pk_add_f16 v19, v34, v19
	v_pk_mul_f16 v34, v48, s23 op_sel_hi:[0,1]
	v_pk_add_f16 v6, v7, v6
	v_pk_fma_f16 v7, v38, s18, v51 op_sel_hi:[0,1,1] neg_lo:[0,0,1] neg_hi:[0,0,1]
	v_pk_fma_f16 v38, v47, s22, v34 op_sel_hi:[0,1,1] neg_lo:[0,0,1] neg_hi:[0,0,1]
	v_pk_add_f16 v38, v38, v19
	v_pk_mul_f16 v19, v29, s24 op_sel_hi:[0,1]
	v_pk_mul_f16 v23, v23, s25 op_sel_hi:[0,1]
	v_pk_add_f16 v6, v7, v6
	v_pk_fma_f16 v7, v42, s20, v52 op_sel_hi:[0,1,1] neg_lo:[0,0,1] neg_hi:[0,0,1]
	v_add_f16_e32 v42, v19, v23
	v_pk_mul_f16 v49, v35, s26 op_sel_hi:[0,1]
	v_pk_mul_f16 v20, v20, s27 op_sel_hi:[0,1]
	v_pk_add_f16 v6, v7, v6
	v_pk_fma_f16 v7, v46, s22, v53 op_sel_hi:[0,1,1] neg_lo:[0,0,1] neg_hi:[0,0,1]
	v_add_f16_sdwa v42, v42, v5 dst_sel:DWORD dst_unused:UNUSED_PAD src0_sel:DWORD src1_sel:WORD_1
	v_pk_fma_f16 v46, v29, s24, v23 op_sel_hi:[0,1,1] neg_lo:[0,0,1] neg_hi:[0,0,1]
	v_add_f16_e32 v50, v49, v20
	v_pk_add_f16 v46, v46, v5 op_sel:[0,1]
	v_add_f16_e32 v42, v50, v42
	v_pk_fma_f16 v50, v35, s26, v20 op_sel_hi:[0,1,1] neg_lo:[0,0,1] neg_hi:[0,0,1]
	v_mul_f16_e32 v31, 0xbbad, v29
	v_pk_add_f16 v46, v50, v46
	v_pk_mul_f16 v50, v39, s28 op_sel_hi:[0,1]
	v_pk_mul_f16 v40, v40, s29 op_sel_hi:[0,1]
	v_mul_f16_e32 v36, 0x3abb, v35
	v_add_f16_e32 v51, v50, v40
	v_bfi_b32 v19, s35, v31, v19
	v_bfi_b32 v23, s35, v32, v23
	v_pk_add_f16 v6, v7, v6
	v_add_f16_e32 v42, v51, v42
	v_pk_fma_f16 v51, v39, s28, v40 op_sel_hi:[0,1,1] neg_lo:[0,0,1] neg_hi:[0,0,1]
	v_pk_add_f16 v19, v19, v23
	v_bfi_b32 v23, s35, v36, v49
	v_bfi_b32 v20, s35, v37, v20
	v_mul_f16_e32 v30, 0xb93d, v39
	v_alignbit_b32 v6, v6, v6, 16
	v_lshl_add_u32 v17, v4, 1, v2
	s_movk_i32 s36, 0xffec
	v_pk_add_f16 v46, v51, v46
	v_pk_mul_f16 v51, v43, s30 op_sel_hi:[0,1]
	v_pk_mul_f16 v44, v44, s31 op_sel_hi:[0,1]
	v_pk_add_f16 v19, v19, v5 op_sel:[0,1]
	v_pk_add_f16 v20, v23, v20
	ds_write_b32 v22, v6 offset:18
	s_waitcnt lgkmcnt(0)
	s_barrier
	v_mad_i32_i24 v16, v4, s36, v22
	ds_read_u16 v2, v17
	ds_read_u16 v13, v16 offset:22
	ds_read_u16 v11, v16 offset:44
	;; [unrolled: 1-line block ×10, first 2 shown]
	v_add_f16_e32 v52, v51, v44
	v_pk_add_f16 v19, v20, v19
	v_bfi_b32 v20, s35, v30, v50
	v_bfi_b32 v23, s35, v41, v40
	v_mul_f16_e32 v21, 0x36a6, v43
	v_add_f16_e32 v42, v52, v42
	v_pk_fma_f16 v52, v43, s30, v44 op_sel_hi:[0,1,1] neg_lo:[0,0,1] neg_hi:[0,0,1]
	v_pk_add_f16 v20, v20, v23
	v_pk_add_f16 v46, v52, v46
	v_pk_mul_f16 v52, v47, s33 op_sel_hi:[0,1]
	v_pk_mul_f16 v48, v48, s34 op_sel_hi:[0,1]
	v_pk_add_f16 v19, v20, v19
	v_bfi_b32 v20, s35, v21, v51
	v_bfi_b32 v21, s35, v45, v44
	v_mul_f16_e32 v63, 0xb08e, v47
	v_add_f16_e32 v53, v52, v48
	v_pk_add_f16 v20, v20, v21
	v_add_f16_e32 v42, v53, v42
	v_pk_fma_f16 v53, v47, s33, v48 op_sel_hi:[0,1,1] neg_lo:[0,0,1] neg_hi:[0,0,1]
	v_pk_add_f16 v19, v20, v19
	v_bfi_b32 v20, s35, v63, v52
	v_bfi_b32 v18, s35, v18, v48
	v_pk_add_f16 v46, v53, v46
	v_pk_add_f16 v18, v20, v18
	v_alignbit_b32 v20, v33, v46, 16
	v_pk_add_f16 v21, v18, v19
	v_alignbit_b32 v19, v46, v38, 16
	v_pack_b32_f16 v18, v27, v38
	s_waitcnt lgkmcnt(0)
	s_barrier
	ds_write_b128 v22, v[18:21]
	ds_write_b16 v22, v42 offset:16
	v_pk_fma_f16 v18, v29, s14, v24 op_sel_hi:[0,1,1]
	v_pk_add_f16 v5, v18, v5 op_sel:[0,1]
	v_pk_fma_f16 v18, v35, s15, v25 op_sel_hi:[0,1,1]
	v_pk_add_f16 v5, v18, v5
	v_pk_fma_f16 v18, v39, s18, v26 op_sel_hi:[0,1,1]
	v_pk_add_f16 v5, v18, v5
	;; [unrolled: 2-line block ×4, first 2 shown]
	s_nop 0
	v_alignbit_b32 v5, v5, v5, 16
	ds_write_b32 v22, v5 offset:18
	s_waitcnt lgkmcnt(0)
	s_barrier
	s_and_saveexec_b64 s[14:15], vcc
	s_cbranch_execz .LBB0_12
; %bb.11:
	v_mul_u32_u24_e32 v4, 10, v4
	v_lshlrev_b32_e32 v26, 2, v4
	global_load_dwordx2 v[4:5], v26, s[4:5] offset:32
	global_load_dwordx4 v[18:21], v26, s[4:5]
	global_load_dwordx4 v[22:25], v26, s[4:5] offset:16
	ds_read_u16 v26, v16 offset:66
	ds_read_u16 v27, v16 offset:88
	;; [unrolled: 1-line block ×7, first 2 shown]
	ds_read_u16 v17, v17
	ds_read_u16 v33, v16 offset:220
	ds_read_u16 v34, v16 offset:198
	;; [unrolled: 1-line block ×3, first 2 shown]
	s_movk_i32 s4, 0x3482
	s_mov_b32 s5, 0xb853
	s_movk_i32 s16, 0x3a0c
	s_mov_b32 s14, 0xbb47
	s_movk_i32 s15, 0x3beb
	s_waitcnt vmcnt(2)
	v_mul_f16_sdwa v35, v15, v5 dst_sel:DWORD dst_unused:UNUSED_PAD src0_sel:DWORD src1_sel:WORD_1
	s_waitcnt vmcnt(1)
	v_mul_f16_sdwa v36, v13, v18 dst_sel:DWORD dst_unused:UNUSED_PAD src0_sel:DWORD src1_sel:WORD_1
	s_waitcnt lgkmcnt(4)
	v_mul_f16_sdwa v37, v32, v18 dst_sel:DWORD dst_unused:UNUSED_PAD src0_sel:DWORD src1_sel:WORD_1
	s_waitcnt lgkmcnt(2)
	v_mul_f16_sdwa v38, v33, v5 dst_sel:DWORD dst_unused:UNUSED_PAD src0_sel:DWORD src1_sel:WORD_1
	v_mul_f16_sdwa v39, v14, v4 dst_sel:DWORD dst_unused:UNUSED_PAD src0_sel:DWORD src1_sel:WORD_1
	;; [unrolled: 1-line block ×4, first 2 shown]
	s_waitcnt vmcnt(0)
	v_mul_f16_sdwa v47, v9, v24 dst_sel:DWORD dst_unused:UNUSED_PAD src0_sel:DWORD src1_sel:WORD_1
	v_mul_f16_sdwa v50, v28, v24 dst_sel:DWORD dst_unused:UNUSED_PAD src0_sel:DWORD src1_sel:WORD_1
	;; [unrolled: 1-line block ×4, first 2 shown]
	v_fma_f16 v33, v33, v5, -v35
	v_fma_f16 v32, v32, v18, -v36
	s_waitcnt lgkmcnt(1)
	v_mul_f16_sdwa v42, v34, v4 dst_sel:DWORD dst_unused:UNUSED_PAD src0_sel:DWORD src1_sel:WORD_1
	v_mul_f16_sdwa v43, v12, v25 dst_sel:DWORD dst_unused:UNUSED_PAD src0_sel:DWORD src1_sel:WORD_1
	;; [unrolled: 1-line block ×4, first 2 shown]
	s_waitcnt lgkmcnt(0)
	v_mul_f16_sdwa v46, v16, v25 dst_sel:DWORD dst_unused:UNUSED_PAD src0_sel:DWORD src1_sel:WORD_1
	v_mul_f16_sdwa v48, v8, v21 dst_sel:DWORD dst_unused:UNUSED_PAD src0_sel:DWORD src1_sel:WORD_1
	;; [unrolled: 1-line block ×5, first 2 shown]
	v_fma_f16 v13, v13, v18, v37
	v_fma_f16 v5, v15, v5, v38
	v_fma_f16 v15, v34, v4, -v39
	v_fma_f16 v18, v31, v19, -v40
	v_fma_f16 v11, v11, v19, v41
	v_fma_f16 v19, v28, v24, -v47
	v_fma_f16 v9, v9, v24, v50
	;; [unrolled: 2-line block ×3, first 2 shown]
	v_add_f16_e32 v22, v33, v32
	v_fma_f16 v4, v14, v4, v42
	v_fma_f16 v14, v16, v25, -v43
	v_fma_f16 v16, v26, v20, -v44
	v_fma_f16 v10, v10, v20, v45
	v_fma_f16 v12, v12, v25, v46
	v_fma_f16 v20, v27, v21, -v48
	v_fma_f16 v8, v8, v21, v49
	v_fma_f16 v21, v29, v23, -v51
	v_fma_f16 v7, v7, v23, v54
	v_sub_f16_e32 v23, v13, v5
	v_add_f16_e32 v25, v15, v18
	v_mul_f16_e32 v38, 0xbbad, v22
	v_sub_f16_e32 v26, v11, v4
	v_add_f16_e32 v27, v14, v16
	v_mul_f16_e32 v39, 0x3abb, v25
	v_fma_f16 v44, v23, s4, v38
	v_sub_f16_e32 v28, v10, v12
	v_add_f16_e32 v29, v19, v20
	v_sub_f16_e32 v36, v32, v33
	v_mul_f16_e32 v40, 0xb93d, v27
	v_fma_f16 v45, v26, s5, v39
	v_add_f16_e32 v44, v17, v44
	v_sub_f16_e32 v30, v8, v9
	v_add_f16_e32 v35, v5, v13
	v_mul_f16_e32 v41, 0x36a6, v29
	v_mul_f16_e32 v43, 0xb482, v36
	v_fma_f16 v46, v28, s16, v40
	v_add_f16_e32 v44, v44, v45
	v_sub_f16_e32 v45, v18, v15
	v_add_f16_e32 v31, v21, v24
	v_add_f16_e32 v37, v4, v11
	v_fma_f16 v47, v30, s14, v41
	v_fma_f16 v49, v35, s0, v43
	v_add_f16_e32 v44, v44, v46
	v_mul_f16_e32 v46, 0x3853, v45
	v_sub_f16_e32 v34, v6, v7
	v_mul_f16_e32 v42, 0xb08e, v31
	v_add_f16_e32 v49, v2, v49
	v_add_f16_e32 v44, v44, v47
	v_fma_f16 v47, v37, s2, v46
	v_fma_f16 v48, v34, s15, v42
	v_add_f16_e32 v47, v49, v47
	v_sub_f16_e32 v49, v16, v14
	v_add_f16_e32 v44, v44, v48
	v_add_f16_e32 v48, v12, v10
	v_mul_f16_e32 v50, 0xba0c, v49
	v_fma_f16 v51, v48, s3, v50
	v_sub_f16_e32 v52, v20, v19
	v_add_f16_e32 v47, v47, v51
	v_add_f16_e32 v51, v9, v8
	v_mul_f16_e32 v53, 0x3b47, v52
	v_add_f16_e32 v13, v2, v13
	v_fma_f16 v54, v51, s10, v53
	v_sub_f16_e32 v55, v24, v21
	v_add_f16_e32 v11, v13, v11
	v_add_f16_e32 v47, v47, v54
	;; [unrolled: 1-line block ×3, first 2 shown]
	v_mul_f16_e32 v56, 0xbbeb, v55
	v_add_f16_e32 v10, v11, v10
	v_fma_f16 v57, v54, s11, v56
	v_add_f16_e32 v8, v10, v8
	v_add_f16_e32 v47, v47, v57
	v_mul_f16_e32 v57, 0xb93d, v22
	v_add_f16_e32 v6, v8, v6
	v_fma_f16 v58, v23, s16, v57
	v_mul_f16_e32 v59, 0xb08e, v25
	v_add_f16_e32 v6, v7, v6
	v_add_f16_e32 v58, v17, v58
	v_fma_f16 v60, v26, s12, v59
	v_add_f16_e32 v6, v9, v6
	v_add_f16_e32 v58, v58, v60
	v_mul_f16_e32 v60, 0x3abb, v27
	v_add_f16_e32 v6, v12, v6
	v_fma_f16 v61, v28, s7, v60
	v_add_f16_e32 v4, v4, v6
	v_add_f16_e32 v58, v58, v61
	v_mul_f16_e32 v61, 0xbbad, v29
	v_add_f16_e32 v8, v5, v4
	v_add_f16_e32 v4, v17, v32
	v_fma_f16 v62, v30, s4, v61
	v_add_f16_e32 v4, v4, v18
	v_add_f16_e32 v58, v58, v62
	v_mul_f16_e32 v62, 0x36a6, v31
	v_add_f16_e32 v4, v4, v16
	v_fma_f16 v63, v34, s14, v62
	v_add_f16_e32 v4, v4, v20
	v_add_f16_e32 v58, v58, v63
	v_mul_f16_e32 v63, 0xba0c, v36
	v_add_f16_e32 v4, v4, v24
	v_fma_f16 v64, v35, s3, v63
	v_mul_f16_e32 v65, 0x3beb, v45
	v_add_f16_e32 v4, v21, v4
	v_add_f16_e32 v64, v2, v64
	v_fma_f16 v66, v37, s11, v65
	v_add_f16_e32 v4, v19, v4
	v_add_f16_e32 v64, v64, v66
	v_mul_f16_e32 v66, 0xb853, v49
	v_add_f16_e32 v4, v14, v4
	v_fma_f16 v67, v48, s2, v66
	v_add_f16_e32 v4, v15, v4
	v_add_f16_e32 v64, v64, v67
	v_mul_f16_e32 v67, 0xb482, v52
	v_add_f16_e32 v9, v33, v4
	v_fma_f16 v4, v23, s1, v38
	v_fma_f16 v68, v51, s0, v67
	v_add_f16_e32 v4, v17, v4
	v_fma_f16 v5, v26, s7, v39
	v_add_f16_e32 v64, v64, v68
	v_mul_f16_e32 v68, 0x3b47, v55
	v_add_f16_e32 v4, v4, v5
	v_fma_f16 v5, v28, s6, v40
	v_fma_f16 v69, v54, s10, v68
	v_add_f16_e32 v4, v4, v5
	v_fma_f16 v5, v30, s13, v41
	v_add_f16_e32 v64, v64, v69
	v_mul_f16_e32 v69, 0xb08e, v22
	v_add_f16_e32 v4, v4, v5
	v_fma_f16 v5, v34, s12, v42
	v_fma_f16 v70, v23, s15, v69
	v_mul_f16_e32 v71, 0xbbad, v25
	v_add_f16_e32 v10, v4, v5
	v_fma_f16 v4, v35, s0, -v43
	v_add_f16_e32 v70, v17, v70
	v_fma_f16 v72, v26, s1, v71
	v_add_f16_e32 v4, v2, v4
	v_fma_f16 v5, v37, s2, -v46
	v_add_f16_e32 v70, v70, v72
	v_mul_f16_e32 v72, 0x36a6, v27
	v_add_f16_e32 v4, v4, v5
	v_fma_f16 v5, v48, s3, -v50
	v_fma_f16 v73, v28, s14, v72
	v_add_f16_e32 v4, v4, v5
	v_fma_f16 v5, v51, s10, -v53
	v_add_f16_e32 v70, v70, v73
	v_mul_f16_e32 v73, 0x3abb, v29
	v_add_f16_e32 v4, v4, v5
	v_fma_f16 v5, v54, s11, -v56
	v_fma_f16 v74, v30, s7, v73
	v_add_f16_e32 v11, v4, v5
	v_fma_f16 v4, v23, s6, v57
	v_add_f16_e32 v70, v70, v74
	v_mul_f16_e32 v74, 0xb93d, v31
	v_add_f16_e32 v4, v17, v4
	v_fma_f16 v5, v26, s15, v59
	v_fma_f16 v75, v34, s16, v74
	v_add_f16_e32 v4, v4, v5
	v_fma_f16 v5, v28, s5, v60
	v_add_f16_e32 v70, v70, v75
	v_mul_f16_e32 v75, 0xbbeb, v36
	v_add_f16_e32 v4, v4, v5
	v_fma_f16 v5, v30, s1, v61
	v_fma_f16 v76, v35, s11, v75
	v_mul_f16_e32 v77, 0x3482, v45
	v_add_f16_e32 v4, v4, v5
	v_fma_f16 v5, v34, s13, v62
	v_add_f16_e32 v76, v2, v76
	v_fma_f16 v78, v37, s0, v77
	v_add_f16_e32 v12, v4, v5
	v_fma_f16 v4, v35, s3, -v63
	v_add_f16_e32 v76, v76, v78
	v_mul_f16_e32 v78, 0x3b47, v49
	v_add_f16_e32 v4, v2, v4
	v_fma_f16 v5, v37, s11, -v65
	v_fma_f16 v79, v48, s10, v78
	v_add_f16_e32 v4, v4, v5
	v_fma_f16 v5, v48, s2, -v66
	v_add_f16_e32 v76, v76, v79
	v_mul_f16_e32 v79, 0xb853, v52
	v_add_f16_e32 v4, v4, v5
	v_fma_f16 v5, v51, s0, -v67
	v_fma_f16 v80, v51, s2, v79
	v_add_f16_e32 v4, v4, v5
	v_fma_f16 v5, v54, s10, -v68
	v_add_f16_e32 v76, v76, v80
	v_mul_f16_e32 v80, 0xba0c, v55
	v_add_f16_e32 v13, v4, v5
	v_fma_f16 v4, v23, s12, v69
	v_fma_f16 v81, v54, s3, v80
	v_add_f16_e32 v4, v17, v4
	v_fma_f16 v5, v26, s4, v71
	v_add_f16_e32 v76, v76, v81
	v_mul_f16_e32 v81, 0x36a6, v22
	v_add_f16_e32 v4, v4, v5
	v_fma_f16 v5, v28, s13, v72
	v_fma_f16 v82, v23, s13, v81
	v_mul_f16_e32 v83, 0xb93d, v25
	v_add_f16_e32 v4, v4, v5
	v_fma_f16 v5, v30, s5, v73
	v_add_f16_e32 v82, v17, v82
	v_fma_f16 v84, v26, s16, v83
	;; [unrolled: 2-line block ×3, first 2 shown]
	v_add_f16_e32 v82, v82, v84
	v_mul_f16_e32 v84, 0xbbad, v27
	v_add_f16_e32 v14, v4, v5
	v_fma_f16 v4, v35, s11, -v75
	v_fma_f16 v85, v28, s1, v84
	v_add_f16_e32 v4, v2, v4
	v_fma_f16 v5, v37, s0, -v77
	v_add_f16_e32 v82, v82, v85
	v_mul_f16_e32 v85, 0xb08e, v29
	v_add_f16_e32 v4, v4, v5
	v_fma_f16 v5, v48, s10, -v78
	v_fma_f16 v86, v30, s12, v85
	v_add_f16_e32 v4, v4, v5
	v_fma_f16 v5, v51, s2, -v79
	v_add_f16_e32 v82, v82, v86
	v_mul_f16_e32 v86, 0x3abb, v31
	v_add_f16_e32 v4, v4, v5
	v_fma_f16 v5, v54, s3, -v80
	v_fma_f16 v87, v34, s5, v86
	v_add_f16_e32 v15, v4, v5
	v_fma_f16 v4, v23, s14, v81
	v_add_f16_e32 v82, v82, v87
	v_mul_f16_e32 v87, 0xbb47, v36
	v_add_f16_e32 v4, v17, v4
	v_fma_f16 v5, v26, s6, v83
	v_fma_f16 v88, v35, s10, v87
	v_mul_f16_e32 v89, 0xba0c, v45
	v_add_f16_e32 v4, v4, v5
	v_fma_f16 v5, v28, s4, v84
	v_add_f16_e32 v88, v2, v88
	v_fma_f16 v90, v37, s3, v89
	;; [unrolled: 2-line block ×3, first 2 shown]
	v_add_f16_e32 v88, v88, v90
	v_mul_f16_e32 v90, 0x3482, v49
	v_add_f16_e32 v4, v4, v5
	v_fma_f16 v5, v34, s7, v86
	v_fma_f16 v91, v48, s0, v90
	v_add_f16_e32 v16, v4, v5
	v_fma_f16 v4, v35, s10, -v87
	v_add_f16_e32 v88, v88, v91
	v_mul_f16_e32 v91, 0x3beb, v52
	v_add_f16_e32 v4, v2, v4
	v_fma_f16 v5, v37, s3, -v89
	v_fma_f16 v92, v51, s11, v91
	v_add_f16_e32 v4, v4, v5
	v_fma_f16 v5, v48, s0, -v90
	v_add_f16_e32 v88, v88, v92
	v_mul_f16_e32 v92, 0x3853, v55
	v_add_f16_e32 v4, v4, v5
	v_fma_f16 v5, v51, s11, -v91
	v_fma_f16 v93, v54, s2, v92
	v_mul_f16_e32 v22, 0x3abb, v22
	v_add_f16_e32 v4, v4, v5
	v_fma_f16 v5, v54, s2, -v92
	v_add_f16_e32 v88, v88, v93
	v_fma_f16 v93, v23, s7, v22
	v_mul_f16_e32 v25, 0x36a6, v25
	v_add_f16_e32 v18, v4, v5
	v_fma_f16 v4, v23, s5, v22
	v_add_f16_e32 v93, v17, v93
	v_fma_f16 v94, v26, s13, v25
	v_mul_f16_e32 v27, 0xb08e, v27
	v_add_f16_e32 v4, v17, v4
	v_fma_f16 v5, v26, s14, v25
	;; [unrolled: 5-line block ×5, first 2 shown]
	v_add_f16_e32 v93, v93, v94
	v_fma_f16 v94, v35, s2, v36
	v_mul_f16_e32 v45, 0xbb47, v45
	v_add_f16_e32 v17, v4, v5
	v_fma_f16 v4, v35, s2, -v36
	v_add_f16_e32 v94, v2, v94
	v_mul_f16_e32 v49, 0xbbeb, v49
	v_add_f16_e32 v2, v2, v4
	v_fma_f16 v4, v37, s10, -v45
	v_fma_f16 v95, v37, s10, v45
	v_mul_f16_e32 v52, 0xba0c, v52
	v_add_f16_e32 v2, v2, v4
	v_fma_f16 v4, v48, s11, -v49
	v_add_f16_e32 v94, v94, v95
	v_fma_f16 v95, v48, s11, v49
	v_mul_f16_e32 v55, 0xb482, v55
	v_add_f16_e32 v2, v2, v4
	v_fma_f16 v4, v51, s3, -v52
	v_add_f16_e32 v94, v94, v95
	v_fma_f16 v95, v51, s3, v52
	v_add_f16_e32 v2, v2, v4
	v_fma_f16 v4, v54, s0, -v55
	v_add_f16_e32 v94, v94, v95
	v_fma_f16 v95, v54, s0, v55
	v_add_f16_e32 v19, v2, v4
	v_mad_u64_u32 v[4:5], s[0:1], s8, v3, 0
	v_mov_b32_e32 v2, v5
	v_mad_u64_u32 v[6:7], s[0:1], s9, v3, v[2:3]
	v_mov_b32_e32 v5, v6
	v_lshl_add_u64 v[4:5], v[4:5], 2, v[0:1]
	v_pack_b32_f16 v2, v8, v9
	v_add_u32_e32 v6, 11, v3
	global_store_dword v[4:5], v2, off
	v_mad_u64_u32 v[4:5], s[0:1], s8, v6, 0
	v_mov_b32_e32 v2, v5
	v_mad_u64_u32 v[6:7], s[0:1], s9, v6, v[2:3]
	v_add_f16_e32 v94, v94, v95
	v_mov_b32_e32 v5, v6
	v_lshl_add_u64 v[4:5], v[4:5], 2, v[0:1]
	v_pack_b32_f16 v2, v94, v93
	v_add_u32_e32 v6, 22, v3
	global_store_dword v[4:5], v2, off
	v_mad_u64_u32 v[4:5], s[0:1], s8, v6, 0
	v_mov_b32_e32 v2, v5
	v_mad_u64_u32 v[6:7], s[0:1], s9, v6, v[2:3]
	v_mov_b32_e32 v5, v6
	v_lshl_add_u64 v[4:5], v[4:5], 2, v[0:1]
	v_pack_b32_f16 v2, v88, v82
	v_add_u32_e32 v6, 33, v3
	global_store_dword v[4:5], v2, off
	v_mad_u64_u32 v[4:5], s[0:1], s8, v6, 0
	v_mov_b32_e32 v2, v5
	v_mad_u64_u32 v[6:7], s[0:1], s9, v6, v[2:3]
	;; [unrolled: 8-line block ×8, first 2 shown]
	v_mov_b32_e32 v5, v6
	v_lshl_add_u64 v[4:5], v[4:5], 2, v[0:1]
	v_pack_b32_f16 v2, v18, v16
	global_store_dword v[4:5], v2, off
	v_add_u32_e32 v5, 0x6e, v3
	v_mad_u64_u32 v[2:3], s[0:1], s8, v5, 0
	v_mov_b32_e32 v4, v3
	v_mad_u64_u32 v[4:5], s[0:1], s9, v5, v[4:5]
	v_mov_b32_e32 v3, v4
	v_lshl_add_u64 v[0:1], v[2:3], 2, v[0:1]
	v_pack_b32_f16 v2, v19, v17
	global_store_dword v[0:1], v2, off
.LBB0_12:
	s_endpgm
	.section	.rodata,"a",@progbits
	.p2align	6, 0x0
	.amdhsa_kernel fft_rtc_back_len121_factors_11_11_wgs_121_tpt_11_halfLds_half_ip_CI_sbrr_dirReg
		.amdhsa_group_segment_fixed_size 0
		.amdhsa_private_segment_fixed_size 0
		.amdhsa_kernarg_size 88
		.amdhsa_user_sgpr_count 2
		.amdhsa_user_sgpr_dispatch_ptr 0
		.amdhsa_user_sgpr_queue_ptr 0
		.amdhsa_user_sgpr_kernarg_segment_ptr 1
		.amdhsa_user_sgpr_dispatch_id 0
		.amdhsa_user_sgpr_kernarg_preload_length 0
		.amdhsa_user_sgpr_kernarg_preload_offset 0
		.amdhsa_user_sgpr_private_segment_size 0
		.amdhsa_uses_dynamic_stack 0
		.amdhsa_enable_private_segment 0
		.amdhsa_system_sgpr_workgroup_id_x 1
		.amdhsa_system_sgpr_workgroup_id_y 0
		.amdhsa_system_sgpr_workgroup_id_z 0
		.amdhsa_system_sgpr_workgroup_info 0
		.amdhsa_system_vgpr_workitem_id 0
		.amdhsa_next_free_vgpr 96
		.amdhsa_next_free_sgpr 37
		.amdhsa_accum_offset 96
		.amdhsa_reserve_vcc 1
		.amdhsa_float_round_mode_32 0
		.amdhsa_float_round_mode_16_64 0
		.amdhsa_float_denorm_mode_32 3
		.amdhsa_float_denorm_mode_16_64 3
		.amdhsa_dx10_clamp 1
		.amdhsa_ieee_mode 1
		.amdhsa_fp16_overflow 0
		.amdhsa_tg_split 0
		.amdhsa_exception_fp_ieee_invalid_op 0
		.amdhsa_exception_fp_denorm_src 0
		.amdhsa_exception_fp_ieee_div_zero 0
		.amdhsa_exception_fp_ieee_overflow 0
		.amdhsa_exception_fp_ieee_underflow 0
		.amdhsa_exception_fp_ieee_inexact 0
		.amdhsa_exception_int_div_zero 0
	.end_amdhsa_kernel
	.text
.Lfunc_end0:
	.size	fft_rtc_back_len121_factors_11_11_wgs_121_tpt_11_halfLds_half_ip_CI_sbrr_dirReg, .Lfunc_end0-fft_rtc_back_len121_factors_11_11_wgs_121_tpt_11_halfLds_half_ip_CI_sbrr_dirReg
                                        ; -- End function
	.section	.AMDGPU.csdata,"",@progbits
; Kernel info:
; codeLenInByte = 6772
; NumSgprs: 43
; NumVgprs: 96
; NumAgprs: 0
; TotalNumVgprs: 96
; ScratchSize: 0
; MemoryBound: 0
; FloatMode: 240
; IeeeMode: 1
; LDSByteSize: 0 bytes/workgroup (compile time only)
; SGPRBlocks: 5
; VGPRBlocks: 11
; NumSGPRsForWavesPerEU: 43
; NumVGPRsForWavesPerEU: 96
; AccumOffset: 96
; Occupancy: 5
; WaveLimiterHint : 1
; COMPUTE_PGM_RSRC2:SCRATCH_EN: 0
; COMPUTE_PGM_RSRC2:USER_SGPR: 2
; COMPUTE_PGM_RSRC2:TRAP_HANDLER: 0
; COMPUTE_PGM_RSRC2:TGID_X_EN: 1
; COMPUTE_PGM_RSRC2:TGID_Y_EN: 0
; COMPUTE_PGM_RSRC2:TGID_Z_EN: 0
; COMPUTE_PGM_RSRC2:TIDIG_COMP_CNT: 0
; COMPUTE_PGM_RSRC3_GFX90A:ACCUM_OFFSET: 23
; COMPUTE_PGM_RSRC3_GFX90A:TG_SPLIT: 0
	.text
	.p2alignl 6, 3212836864
	.fill 256, 4, 3212836864
	.type	__hip_cuid_3f84d25cc3e08ae1,@object ; @__hip_cuid_3f84d25cc3e08ae1
	.section	.bss,"aw",@nobits
	.globl	__hip_cuid_3f84d25cc3e08ae1
__hip_cuid_3f84d25cc3e08ae1:
	.byte	0                               ; 0x0
	.size	__hip_cuid_3f84d25cc3e08ae1, 1

	.ident	"AMD clang version 19.0.0git (https://github.com/RadeonOpenCompute/llvm-project roc-6.4.0 25133 c7fe45cf4b819c5991fe208aaa96edf142730f1d)"
	.section	".note.GNU-stack","",@progbits
	.addrsig
	.addrsig_sym __hip_cuid_3f84d25cc3e08ae1
	.amdgpu_metadata
---
amdhsa.kernels:
  - .agpr_count:     0
    .args:
      - .actual_access:  read_only
        .address_space:  global
        .offset:         0
        .size:           8
        .value_kind:     global_buffer
      - .offset:         8
        .size:           8
        .value_kind:     by_value
      - .actual_access:  read_only
        .address_space:  global
        .offset:         16
        .size:           8
        .value_kind:     global_buffer
      - .actual_access:  read_only
        .address_space:  global
        .offset:         24
        .size:           8
        .value_kind:     global_buffer
      - .offset:         32
        .size:           8
        .value_kind:     by_value
      - .actual_access:  read_only
        .address_space:  global
        .offset:         40
        .size:           8
        .value_kind:     global_buffer
      - .actual_access:  read_only
        .address_space:  global
        .offset:         48
        .size:           8
        .value_kind:     global_buffer
      - .offset:         56
        .size:           4
        .value_kind:     by_value
      - .actual_access:  read_only
        .address_space:  global
        .offset:         64
        .size:           8
        .value_kind:     global_buffer
      - .actual_access:  read_only
        .address_space:  global
        .offset:         72
        .size:           8
        .value_kind:     global_buffer
      - .address_space:  global
        .offset:         80
        .size:           8
        .value_kind:     global_buffer
    .group_segment_fixed_size: 0
    .kernarg_segment_align: 8
    .kernarg_segment_size: 88
    .language:       OpenCL C
    .language_version:
      - 2
      - 0
    .max_flat_workgroup_size: 121
    .name:           fft_rtc_back_len121_factors_11_11_wgs_121_tpt_11_halfLds_half_ip_CI_sbrr_dirReg
    .private_segment_fixed_size: 0
    .sgpr_count:     43
    .sgpr_spill_count: 0
    .symbol:         fft_rtc_back_len121_factors_11_11_wgs_121_tpt_11_halfLds_half_ip_CI_sbrr_dirReg.kd
    .uniform_work_group_size: 1
    .uses_dynamic_stack: false
    .vgpr_count:     96
    .vgpr_spill_count: 0
    .wavefront_size: 64
amdhsa.target:   amdgcn-amd-amdhsa--gfx950
amdhsa.version:
  - 1
  - 2
...

	.end_amdgpu_metadata
